;; amdgpu-corpus repo=zjin-lcf/HeCBench kind=compiled arch=gfx1250 opt=O3
	.amdgcn_target "amdgcn-amd-amdhsa--gfx1250"
	.amdhsa_code_object_version 6
	.text
	.protected	_Z3epiPKjS0_Pfiiiii     ; -- Begin function _Z3epiPKjS0_Pfiiiii
	.globl	_Z3epiPKjS0_Pfiiiii
	.p2align	8
	.type	_Z3epiPKjS0_Pfiiiii,@function
_Z3epiPKjS0_Pfiiiii:                    ; @_Z3epiPKjS0_Pfiiiii
; %bb.0:
	s_clause 0x1
	s_load_b32 s2, s[0:1], 0x3c
	s_load_b128 s[12:15], s[0:1], 0x18
	s_bfe_u32 s4, ttmp6, 0x4000c
	s_bfe_u32 s5, ttmp6, 0x40010
	s_add_co_i32 s4, s4, 1
	s_add_co_i32 s5, s5, 1
	s_and_b32 s3, ttmp6, 15
	s_bfe_u32 s6, ttmp6, 0x40004
	s_mul_i32 s4, ttmp9, s4
	s_mul_i32 s5, ttmp7, s5
	s_getreg_b32 s7, hwreg(HW_REG_IB_STS2, 6, 4)
	v_bfe_u32 v1, v0, 10, 10
	v_and_b32_e32 v0, 0x3ff, v0
	s_add_co_i32 s3, s3, s4
	s_add_co_i32 s6, s6, s5
	s_wait_kmcnt 0x0
	s_and_b32 s4, s2, 0xffff
	s_lshr_b32 s2, s2, 16
	s_cmp_eq_u32 s7, 0
	s_cselect_b32 s5, ttmp7, s6
	s_cselect_b32 s3, ttmp9, s3
	v_mad_u32 v20, s5, s2, v1
	v_mad_u32 v21, s3, s4, v0
	s_delay_alu instid0(VALU_DEP_1) | instskip(SKIP_1) | instid1(VALU_DEP_2)
	v_max_i32_e32 v0, v20, v21
	v_cmp_gt_i32_e32 vcc_lo, v21, v20
	v_cmp_gt_i32_e64 s2, s12, v0
	s_and_b32 s2, s2, vcc_lo
	s_delay_alu instid0(SALU_CYCLE_1)
	s_and_saveexec_b32 s3, s2
	s_cbranch_execz .LBB0_11
; %bb.1:
	s_clause 0x2
	s_load_b32 s18, s[0:1], 0x28
	s_load_b128 s[4:7], s[0:1], 0x0
	s_load_b64 s[10:11], s[0:1], 0x10
	v_dual_lshlrev_b32 v10, 1, v20 :: v_dual_lshlrev_b32 v12, 1, v21
	s_wait_xcnt 0x0
	s_lshl_b32 s0, s13, 1
	s_delay_alu instid0(SALU_CYCLE_1) | instskip(NEXT) | instid1(VALU_DEP_1)
	s_add_co_i32 s0, s0, -2
	v_dual_ashrrev_i32 v11, 31, v10 :: v_dual_ashrrev_i32 v13, 31, v12
	s_mul_i32 s2, s0, s12
	s_lshl_b32 s0, s12, 1
	s_cmp_lt_i32 s2, 1
	s_delay_alu instid0(VALU_DEP_1)
	v_lshlrev_b64_e32 v[14:15], 2, v[10:11]
	v_lshlrev_b64_e32 v[16:17], 2, v[12:13]
	s_cbranch_scc1 .LBB0_4
; %bb.2:
	v_dual_mov_b32 v0, 0 :: v_dual_mov_b32 v1, 0
	v_dual_mov_b32 v2, 0 :: v_dual_mov_b32 v3, 0
	;; [unrolled: 1-line block ×4, first 2 shown]
	v_mov_b32_e32 v8, 0
	s_ashr_i32 s1, s0, 31
	s_wait_kmcnt 0x0
	s_mov_b64 s[16:17], s[4:5]
	s_lshl_b64 s[8:9], s[0:1], 2
	s_mov_b32 s1, 0
.LBB0_3:                                ; =>This Inner Loop Header: Depth=1
	v_add_nc_u64_e32 v[18:19], s[16:17], v[14:15]
	v_add_nc_u64_e32 v[22:23], s[16:17], v[16:17]
	s_add_co_i32 s1, s1, s0
	s_add_nc_u64 s[16:17], s[16:17], s[8:9]
	s_cmp_lt_i32 s1, s2
	s_clause 0x1
	global_load_b64 v[24:25], v[18:19], off
	global_load_b64 v[26:27], v[22:23], off
	s_wait_loadcnt 0x1
	v_or_b32_e32 v9, v25, v24
	s_wait_loadcnt 0x0
	v_or_b32_e32 v18, v27, v26
	v_and_b32_e32 v19, v26, v24
	v_and_b32_e32 v22, v27, v24
	v_and_b32_e32 v23, v26, v25
	v_xor_b32_e32 v9, -1, v9
	v_xor_b32_e32 v18, -1, v18
	v_and_b32_e32 v28, v27, v25
	v_bcnt_u32_b32 v0, v19, v0
	v_bcnt_u32_b32 v1, v22, v1
	;; [unrolled: 1-line block ×3, first 2 shown]
	v_and_b32_e32 v19, v24, v18
	v_and_b32_e32 v22, v25, v18
	;; [unrolled: 1-line block ×5, first 2 shown]
	v_bcnt_u32_b32 v4, v28, v4
	v_bcnt_u32_b32 v2, v19, v2
	;; [unrolled: 1-line block ×6, first 2 shown]
	s_cbranch_scc1 .LBB0_3
	s_branch .LBB0_5
.LBB0_4:
	v_dual_mov_b32 v8, 0 :: v_dual_mov_b32 v7, 0
	v_dual_mov_b32 v6, 0 :: v_dual_mov_b32 v5, 0
	;; [unrolled: 1-line block ×4, first 2 shown]
	v_mov_b32_e32 v0, 0
.LBB0_5:
	s_wait_kmcnt 0x0
	v_lshl_add_u64 v[18:19], v[10:11], 2, s[4:5]
	v_lshl_add_u64 v[22:23], v[12:13], 2, s[4:5]
	s_ashr_i32 s3, s2, 31
	s_lshl_b32 s1, s14, 1
	s_lshl_b64 s[2:3], s[2:3], 2
	s_add_co_i32 s1, s1, -2
	v_add_nc_u64_e32 v[18:19], s[2:3], v[18:19]
	v_add_nc_u64_e32 v[22:23], s[2:3], v[22:23]
	s_mul_i32 s2, s1, s12
	s_mov_b32 s1, 0
	s_cmp_gt_i32 s2, 0
	s_clause 0x1
	global_load_b64 v[24:25], v[18:19], off
	global_load_b64 v[26:27], v[22:23], off
	s_wait_loadcnt 0x1
	v_or_b32_e32 v9, v25, v24
	s_wait_loadcnt 0x0
	v_or_b32_e32 v18, v27, v26
	v_and_b32_e32 v19, v26, v24
	v_and_b32_e32 v22, v27, v24
	;; [unrolled: 1-line block ×4, first 2 shown]
	v_bitop3_b32 v24, s15, v24, v18 bitop3:0x40
	v_bitop3_b32 v25, s15, v25, v18 bitop3:0x40
	;; [unrolled: 1-line block ×5, first 2 shown]
	v_bcnt_u32_b32 v0, v19, v0
	v_bcnt_u32_b32 v1, v22, v1
	;; [unrolled: 1-line block ×9, first 2 shown]
	s_cbranch_scc0 .LBB0_7
; %bb.6:
	s_mov_b32 s1, -1
.LBB0_7:
	v_dual_mov_b32 v9, 0 :: v_dual_mov_b32 v22, 0
	v_dual_mov_b32 v18, 0 :: v_dual_mov_b32 v19, 0
	;; [unrolled: 1-line block ×4, first 2 shown]
	v_mov_b32_e32 v23, 0
	s_and_not1_b32 vcc_lo, exec_lo, s1
	s_cbranch_vccnz .LBB0_10
; %bb.8:
	v_dual_mov_b32 v23, 0 :: v_dual_mov_b32 v25, 0
	v_dual_mov_b32 v27, 0 :: v_dual_mov_b32 v29, 0
	;; [unrolled: 1-line block ×4, first 2 shown]
	v_mov_b32_e32 v9, 0
	s_ashr_i32 s1, s0, 31
	s_mov_b64 s[8:9], s[6:7]
	s_lshl_b64 s[4:5], s[0:1], 2
	s_mov_b32 s1, 0
.LBB0_9:                                ; =>This Inner Loop Header: Depth=1
	v_add_nc_u64_e32 v[30:31], s[8:9], v[14:15]
	v_add_nc_u64_e32 v[32:33], s[8:9], v[16:17]
	s_add_co_i32 s1, s1, s0
	s_add_nc_u64 s[8:9], s[8:9], s[4:5]
	s_cmp_lt_i32 s1, s2
	s_clause 0x1
	global_load_b64 v[34:35], v[30:31], off
	global_load_b64 v[36:37], v[32:33], off
	s_wait_loadcnt 0x1
	v_or_b32_e32 v24, v35, v34
	s_wait_loadcnt 0x0
	v_or_b32_e32 v26, v37, v36
	v_and_b32_e32 v30, v36, v34
	v_and_b32_e32 v31, v37, v34
	;; [unrolled: 1-line block ×4, first 2 shown]
	v_xor_b32_e32 v24, -1, v24
	v_xor_b32_e32 v26, -1, v26
	v_bcnt_u32_b32 v23, v30, v23
	v_bcnt_u32_b32 v25, v31, v25
	;; [unrolled: 1-line block ×4, first 2 shown]
	v_and_b32_e32 v30, v34, v26
	v_and_b32_e32 v31, v35, v26
	;; [unrolled: 1-line block ×5, first 2 shown]
	v_bcnt_u32_b32 v27, v30, v27
	v_bcnt_u32_b32 v19, v31, v19
	v_bcnt_u32_b32 v18, v32, v18
	v_bcnt_u32_b32 v22, v33, v22
	v_bcnt_u32_b32 v9, v24, v9
	s_cbranch_scc1 .LBB0_9
.LBB0_10:
	v_lshl_add_u64 v[10:11], v[10:11], 2, s[6:7]
	v_lshl_add_u64 v[12:13], v[12:13], 2, s[6:7]
	s_ashr_i32 s3, s2, 31
	s_delay_alu instid0(SALU_CYCLE_1)
	s_lshl_b64 s[0:1], s[2:3], 2
	s_delay_alu instid0(VALU_DEP_2) | instid1(SALU_CYCLE_1)
	v_add_nc_u64_e32 v[14:15], s[0:1], v[10:11]
	s_delay_alu instid0(VALU_DEP_2)
	v_add_nc_u64_e32 v[12:13], s[0:1], v[12:13]
	s_clause 0x1
	global_load_b64 v[16:17], v[14:15], off
	global_load_b64 v[10:11], v[12:13], off
	s_wait_xcnt 0x0
	v_cvt_f32_u32_e32 v13, v0
	s_delay_alu instid0(VALU_DEP_1) | instskip(SKIP_3) | instid1(VALU_DEP_2)
	v_cmp_gt_f32_e32 vcc_lo, 0x800000, v13
	s_wait_loadcnt 0x0
	v_and_b32_e32 v12, v10, v16
	v_or_b32_e32 v36, v11, v10
	v_bcnt_u32_b32 v23, v12, v23
	v_cndmask_b32_e64 v12, 0, 32, vcc_lo
	s_delay_alu instid0(VALU_DEP_2) | instskip(NEXT) | instid1(VALU_DEP_2)
	v_add3_u32 v24, v0, v23, 1
	v_ldexp_f32 v12, v13, v12
	s_delay_alu instid0(VALU_DEP_1) | instskip(SKIP_1) | instid1(TRANS32_DEP_1)
	v_log_f32_e32 v12, v12
	v_nop
	v_mul_f32_e32 v14, 0x3f317217, v12
	v_cmp_gt_f32_e64 s0, 0x7f800000, |v12|
	s_delay_alu instid0(VALU_DEP_2) | instskip(NEXT) | instid1(VALU_DEP_1)
	v_fma_f32 v14, 0x3f317217, v12, -v14
	v_fmac_f32_e32 v14, 0x3377d1cf, v12
	s_delay_alu instid0(VALU_DEP_1) | instskip(NEXT) | instid1(VALU_DEP_1)
	v_fmac_f32_e32 v14, 0x3f317217, v12
	v_cndmask_b32_e64 v14, v12, v14, s0
	v_cvt_f32_u32_e32 v12, v24
	s_delay_alu instid0(VALU_DEP_1) | instskip(SKIP_1) | instid1(VALU_DEP_2)
	v_cmp_gt_f32_e64 s0, 0x800000, v12
	v_pk_add_f32 v[30:31], v[12:13], 0.5 op_sel_hi:[1,0]
	v_cndmask_b32_e64 v15, 0, 32, s0
	s_delay_alu instid0(VALU_DEP_1) | instskip(SKIP_1) | instid1(VALU_DEP_2)
	v_ldexp_f32 v15, v12, v15
	v_pk_add_f32 v[12:13], v[12:13], -1.0 op_sel_hi:[1,0]
	v_log_f32_e32 v15, v15
	v_nop
	s_delay_alu instid0(TRANS32_DEP_1) | instskip(SKIP_1) | instid1(VALU_DEP_2)
	v_mul_f32_e32 v26, 0x3f317217, v15
	v_cmp_gt_f32_e64 s1, 0x7f800000, |v15|
	v_fma_f32 v26, 0x3f317217, v15, -v26
	s_delay_alu instid0(VALU_DEP_1) | instskip(NEXT) | instid1(VALU_DEP_1)
	v_fmac_f32_e32 v26, 0x3377d1cf, v15
	v_fmac_f32_e32 v26, 0x3f317217, v15
	s_delay_alu instid0(VALU_DEP_1) | instskip(SKIP_2) | instid1(VALU_DEP_2)
	v_cndmask_b32_e64 v26, v15, v26, s1
	v_cndmask_b32_e64 v15, 0, 0x41b17218, vcc_lo
	v_cmp_ne_u32_e32 vcc_lo, 0, v0
	v_sub_f32_e32 v15, v14, v15
	v_cndmask_b32_e64 v14, 0, 0x41b17218, s0
	s_delay_alu instid0(VALU_DEP_1) | instskip(NEXT) | instid1(VALU_DEP_1)
	v_sub_f32_e32 v14, v26, v14
	v_pk_fma_f32 v[12:13], v[30:31], v[14:15], v[12:13] neg_lo:[0,0,1] neg_hi:[0,0,1]
	v_cvt_f32_u32_e32 v14, v1
	s_delay_alu instid0(VALU_DEP_1) | instskip(NEXT) | instid1(VALU_DEP_1)
	v_cmp_gt_f32_e64 s0, 0x800000, v14
	v_cndmask_b32_e64 v0, 0, 32, s0
	s_delay_alu instid0(VALU_DEP_1) | instskip(NEXT) | instid1(VALU_DEP_1)
	v_ldexp_f32 v0, v14, v0
	v_log_f32_e32 v0, v0
	v_nop
	s_delay_alu instid0(TRANS32_DEP_1) | instskip(SKIP_1) | instid1(VALU_DEP_2)
	v_mul_f32_e32 v15, 0x3f317217, v0
	v_cmp_gt_f32_e64 s1, 0x7f800000, |v0|
	v_fma_f32 v15, 0x3f317217, v0, -v15
	s_delay_alu instid0(VALU_DEP_1) | instskip(NEXT) | instid1(VALU_DEP_1)
	v_fmac_f32_e32 v15, 0x3377d1cf, v0
	v_fmac_f32_e32 v15, 0x3f317217, v0
	s_delay_alu instid0(VALU_DEP_1) | instskip(SKIP_1) | instid1(VALU_DEP_1)
	v_cndmask_b32_e64 v0, v0, v15, s1
	v_cvt_f32_u32_e32 v15, v2
	v_cmp_gt_f32_e64 s1, 0x800000, v15
	v_pk_add_f32 v[32:33], v[14:15], 0.5 op_sel_hi:[1,0]
	s_delay_alu instid0(VALU_DEP_2) | instskip(NEXT) | instid1(VALU_DEP_1)
	v_cndmask_b32_e64 v26, 0, 32, s1
	v_ldexp_f32 v26, v15, v26
	v_pk_add_f32 v[14:15], v[14:15], -1.0 op_sel_hi:[1,0]
	s_delay_alu instid0(VALU_DEP_2) | instskip(SKIP_1) | instid1(TRANS32_DEP_1)
	v_log_f32_e32 v26, v26
	v_nop
	v_mul_f32_e32 v30, 0x3f317217, v26
	v_cmp_gt_f32_e64 s2, 0x7f800000, |v26|
	s_delay_alu instid0(VALU_DEP_2) | instskip(NEXT) | instid1(VALU_DEP_1)
	v_fma_f32 v30, 0x3f317217, v26, -v30
	v_fmac_f32_e32 v30, 0x3377d1cf, v26
	s_delay_alu instid0(VALU_DEP_1) | instskip(NEXT) | instid1(VALU_DEP_1)
	v_fmac_f32_e32 v30, 0x3f317217, v26
	v_cndmask_b32_e64 v26, v26, v30, s2
	v_cndmask_b32_e64 v30, 0, 0x41b17218, s0
	v_cmp_ne_u32_e64 s0, 0, v1
	s_delay_alu instid0(VALU_DEP_2) | instskip(SKIP_1) | instid1(VALU_DEP_1)
	v_sub_f32_e32 v30, v0, v30
	v_cndmask_b32_e64 v0, 0, 0x41b17218, s1
	v_sub_f32_e32 v31, v26, v0
	v_and_b32_e32 v0, v11, v16
	s_delay_alu instid0(VALU_DEP_2) | instskip(NEXT) | instid1(VALU_DEP_2)
	v_pk_fma_f32 v[14:15], v[32:33], v[30:31], v[14:15] neg_lo:[0,0,1] neg_hi:[0,0,1]
	v_bcnt_u32_b32 v26, v0, v25
	v_cvt_f32_u32_e32 v0, v3
	s_delay_alu instid0(VALU_DEP_2) | instskip(NEXT) | instid1(VALU_DEP_2)
	v_add3_u32 v25, v1, v26, 1
	v_cmp_gt_f32_e64 s1, 0x800000, v0
	s_delay_alu instid0(VALU_DEP_1) | instskip(NEXT) | instid1(VALU_DEP_1)
	v_cndmask_b32_e64 v1, 0, 32, s1
	v_ldexp_f32 v1, v0, v1
	s_delay_alu instid0(VALU_DEP_1) | instskip(SKIP_1) | instid1(TRANS32_DEP_1)
	v_log_f32_e32 v1, v1
	v_nop
	v_mul_f32_e32 v30, 0x3f317217, v1
	v_cmp_gt_f32_e64 s2, 0x7f800000, |v1|
	s_delay_alu instid0(VALU_DEP_2) | instskip(NEXT) | instid1(VALU_DEP_1)
	v_fma_f32 v30, 0x3f317217, v1, -v30
	v_fmac_f32_e32 v30, 0x3377d1cf, v1
	s_delay_alu instid0(VALU_DEP_1) | instskip(NEXT) | instid1(VALU_DEP_1)
	v_fmac_f32_e32 v30, 0x3f317217, v1
	v_cndmask_b32_e64 v30, v1, v30, s2
	v_cvt_f32_u32_e32 v1, v4
	s_delay_alu instid0(VALU_DEP_1) | instskip(NEXT) | instid1(VALU_DEP_1)
	v_cmp_gt_f32_e64 s2, 0x800000, v1
	v_cndmask_b32_e64 v31, 0, 32, s2
	s_delay_alu instid0(VALU_DEP_1) | instskip(NEXT) | instid1(VALU_DEP_1)
	v_ldexp_f32 v31, v1, v31
	v_log_f32_e32 v31, v31
	v_nop
	s_delay_alu instid0(TRANS32_DEP_1) | instskip(SKIP_1) | instid1(VALU_DEP_2)
	v_mul_f32_e32 v32, 0x3f317217, v31
	v_cmp_gt_f32_e64 s3, 0x7f800000, |v31|
	v_fma_f32 v32, 0x3f317217, v31, -v32
	s_delay_alu instid0(VALU_DEP_1) | instskip(NEXT) | instid1(VALU_DEP_1)
	v_fmac_f32_e32 v32, 0x3377d1cf, v31
	v_fmac_f32_e32 v32, 0x3f317217, v31
	s_delay_alu instid0(VALU_DEP_1) | instskip(SKIP_3) | instid1(VALU_DEP_3)
	v_cndmask_b32_e64 v31, v31, v32, s3
	v_cndmask_b32_e64 v32, 0, 0x41b17218, s1
	v_cmp_ne_u32_e64 s1, 0, v3
	v_cmp_ne_u32_e64 s3, 0, v2
	v_sub_f32_e32 v30, v30, v32
	v_cndmask_b32_e64 v32, 0, 0x41b17218, s2
	v_cmp_ne_u32_e64 s2, 0, v4
	s_delay_alu instid0(VALU_DEP_2) | instskip(SKIP_2) | instid1(VALU_DEP_1)
	v_dual_cndmask_b32 v15, 0, v15, s3 :: v_dual_sub_f32 v31, v31, v32
	v_pk_add_f32 v[32:33], v[0:1], 0.5 op_sel_hi:[1,0]
	v_pk_add_f32 v[0:1], v[0:1], -1.0 op_sel_hi:[1,0]
	v_pk_fma_f32 v[0:1], v[32:33], v[30:31], v[0:1] neg_lo:[0,0,1] neg_hi:[0,0,1]
	v_dual_cndmask_b32 v14, 0, v14, s0 :: v_dual_bitop2_b32 v30, v10, v17 bitop3:0x40
	s_delay_alu instid0(VALU_DEP_2) | instskip(NEXT) | instid1(VALU_DEP_2)
	v_cndmask_b32_e64 v1, 0, v1, s2
	v_bcnt_u32_b32 v30, v30, v29
	s_delay_alu instid0(VALU_DEP_1) | instskip(SKIP_1) | instid1(VALU_DEP_1)
	v_add3_u32 v29, v3, v30, 1
	v_and_b32_e32 v3, v11, v17
	v_bcnt_u32_b32 v31, v3, v28
	v_bitop3_b32 v3, s18, v16, v36 bitop3:0x40
	s_delay_alu instid0(VALU_DEP_2) | instskip(NEXT) | instid1(VALU_DEP_2)
	v_add3_u32 v28, v4, v31, 1
	v_bcnt_u32_b32 v32, v3, v27
	s_delay_alu instid0(VALU_DEP_1) | instskip(SKIP_1) | instid1(VALU_DEP_1)
	v_add3_u32 v27, v2, v32, 1
	v_cvt_f32_u32_e32 v2, v5
	v_cmp_gt_f32_e64 s4, 0x800000, v2
	s_delay_alu instid0(VALU_DEP_1) | instskip(NEXT) | instid1(VALU_DEP_1)
	v_cndmask_b32_e64 v3, 0, 32, s4
	v_ldexp_f32 v3, v2, v3
	s_delay_alu instid0(VALU_DEP_1) | instskip(SKIP_1) | instid1(TRANS32_DEP_1)
	v_log_f32_e32 v3, v3
	v_nop
	v_mul_f32_e32 v4, 0x3f317217, v3
	v_cmp_gt_f32_e64 s5, 0x7f800000, |v3|
	s_delay_alu instid0(VALU_DEP_2) | instskip(NEXT) | instid1(VALU_DEP_1)
	v_fma_f32 v4, 0x3f317217, v3, -v4
	v_fmac_f32_e32 v4, 0x3377d1cf, v3
	s_delay_alu instid0(VALU_DEP_1) | instskip(NEXT) | instid1(VALU_DEP_1)
	v_fmac_f32_e32 v4, 0x3f317217, v3
	v_cndmask_b32_e64 v4, v3, v4, s5
	v_cvt_f32_u32_e32 v3, v6
	s_delay_alu instid0(VALU_DEP_1) | instskip(SKIP_1) | instid1(VALU_DEP_2)
	v_cmp_gt_f32_e64 s5, 0x800000, v3
	v_pk_add_f32 v[38:39], v[2:3], 0.5 op_sel_hi:[1,0]
	v_cndmask_b32_e64 v33, 0, 32, s5
	s_delay_alu instid0(VALU_DEP_1) | instskip(SKIP_1) | instid1(VALU_DEP_2)
	v_ldexp_f32 v33, v3, v33
	v_pk_add_f32 v[2:3], v[2:3], -1.0 op_sel_hi:[1,0]
	v_log_f32_e32 v33, v33
	v_nop
	s_delay_alu instid0(TRANS32_DEP_1) | instskip(SKIP_1) | instid1(VALU_DEP_2)
	v_mul_f32_e32 v34, 0x3f317217, v33
	v_cmp_gt_f32_e64 s6, 0x7f800000, |v33|
	v_fma_f32 v34, 0x3f317217, v33, -v34
	s_delay_alu instid0(VALU_DEP_1) | instskip(NEXT) | instid1(VALU_DEP_1)
	v_fmac_f32_e32 v34, 0x3377d1cf, v33
	v_fmac_f32_e32 v34, 0x3f317217, v33
	s_delay_alu instid0(VALU_DEP_1) | instskip(SKIP_2) | instid1(VALU_DEP_2)
	v_cndmask_b32_e64 v33, v33, v34, s6
	v_cndmask_b32_e64 v34, 0, 0x41b17218, s4
	v_cmp_ne_u32_e64 s4, 0, v5
	v_sub_f32_e32 v34, v4, v34
	v_cndmask_b32_e64 v4, 0, 0x41b17218, s5
	v_cmp_ne_u32_e64 s5, 0, v6
	s_delay_alu instid0(VALU_DEP_2) | instskip(SKIP_1) | instid1(VALU_DEP_2)
	v_sub_f32_e32 v35, v33, v4
	v_bitop3_b32 v4, s18, v17, v36 bitop3:0x40
	v_pk_fma_f32 v[2:3], v[38:39], v[34:35], v[2:3] neg_lo:[0,0,1] neg_hi:[0,0,1]
	v_or_b32_e32 v35, v17, v16
	s_delay_alu instid0(VALU_DEP_3) | instskip(NEXT) | instid1(VALU_DEP_3)
	v_bcnt_u32_b32 v33, v4, v19
	v_cndmask_b32_e64 v3, 0, v3, s5
	s_delay_alu instid0(VALU_DEP_3) | instskip(NEXT) | instid1(VALU_DEP_3)
	v_bitop3_b32 v4, s18, v10, v35 bitop3:0x40
	v_add3_u32 v34, v5, v33, 1
	v_cmp_ne_u32_e64 s3, 0, v33
	s_delay_alu instid0(VALU_DEP_3) | instskip(SKIP_1) | instid1(VALU_DEP_2)
	v_bcnt_u32_b32 v10, v4, v18
	v_cvt_f32_u32_e32 v4, v7
	v_add3_u32 v6, v6, v10, 1
	s_delay_alu instid0(VALU_DEP_2) | instskip(NEXT) | instid1(VALU_DEP_1)
	v_cmp_gt_f32_e64 s6, 0x800000, v4
	v_cndmask_b32_e64 v5, 0, 32, s6
	s_delay_alu instid0(VALU_DEP_1) | instskip(NEXT) | instid1(VALU_DEP_1)
	v_ldexp_f32 v5, v4, v5
	v_log_f32_e32 v5, v5
	v_nop
	s_delay_alu instid0(TRANS32_DEP_1) | instskip(SKIP_1) | instid1(VALU_DEP_2)
	v_mul_f32_e32 v16, 0x3f317217, v5
	v_cmp_gt_f32_e64 s7, 0x7f800000, |v5|
	v_fma_f32 v16, 0x3f317217, v5, -v16
	s_delay_alu instid0(VALU_DEP_1) | instskip(NEXT) | instid1(VALU_DEP_1)
	v_fmac_f32_e32 v16, 0x3377d1cf, v5
	v_fmac_f32_e32 v16, 0x3f317217, v5
	s_delay_alu instid0(VALU_DEP_1) | instskip(SKIP_1) | instid1(VALU_DEP_1)
	v_cndmask_b32_e64 v16, v5, v16, s7
	v_cvt_f32_u32_e32 v5, v8
	v_cmp_gt_f32_e64 s7, 0x800000, v5
	s_delay_alu instid0(VALU_DEP_1) | instskip(NEXT) | instid1(VALU_DEP_1)
	v_cndmask_b32_e64 v17, 0, 32, s7
	v_ldexp_f32 v17, v5, v17
	s_delay_alu instid0(VALU_DEP_1) | instskip(SKIP_1) | instid1(TRANS32_DEP_1)
	v_log_f32_e32 v17, v17
	v_nop
	v_mul_f32_e32 v18, 0x3f317217, v17
	v_cmp_gt_f32_e64 s8, 0x7f800000, |v17|
	s_delay_alu instid0(VALU_DEP_2) | instskip(NEXT) | instid1(VALU_DEP_1)
	v_fma_f32 v18, 0x3f317217, v17, -v18
	v_fmac_f32_e32 v18, 0x3377d1cf, v17
	s_delay_alu instid0(VALU_DEP_1) | instskip(NEXT) | instid1(VALU_DEP_1)
	v_fmac_f32_e32 v18, 0x3f317217, v17
	v_cndmask_b32_e64 v17, v17, v18, s8
	v_cndmask_b32_e64 v18, 0, 0x41b17218, s6
	v_cmp_ne_u32_e64 s6, 0, v8
	v_bitop3_b32 v11, s18, v11, v35 bitop3:0x40
	s_delay_alu instid0(VALU_DEP_3) | instskip(SKIP_1) | instid1(VALU_DEP_3)
	v_sub_f32_e32 v16, v16, v18
	v_cndmask_b32_e64 v18, 0, 0x41b17218, s7
	v_bcnt_u32_b32 v22, v11, v22
	s_delay_alu instid0(VALU_DEP_2) | instskip(SKIP_2) | instid1(VALU_DEP_1)
	v_sub_f32_e32 v17, v17, v18
	v_pk_add_f32 v[18:19], v[4:5], 0.5 op_sel_hi:[1,0]
	v_pk_add_f32 v[4:5], v[4:5], -1.0 op_sel_hi:[1,0]
	v_pk_fma_f32 v[4:5], v[18:19], v[16:17], v[4:5] neg_lo:[0,0,1] neg_hi:[0,0,1]
	v_bitop3_b32 v16, s18, v36, v35 bitop3:0x10
	s_delay_alu instid0(VALU_DEP_2) | instskip(NEXT) | instid1(VALU_DEP_2)
	v_cndmask_b32_e64 v5, 0, v5, s6
	v_bcnt_u32_b32 v36, v16, v9
	s_delay_alu instid0(VALU_DEP_1) | instskip(SKIP_1) | instid1(VALU_DEP_1)
	v_add3_u32 v37, v8, v36, 1
	v_cvt_f32_u32_e32 v8, v30
	v_cmp_gt_f32_e64 s7, 0x800000, v8
	s_delay_alu instid0(VALU_DEP_1) | instskip(NEXT) | instid1(VALU_DEP_1)
	v_cndmask_b32_e64 v9, 0, 32, s7
	v_ldexp_f32 v9, v8, v9
	s_delay_alu instid0(VALU_DEP_1) | instskip(SKIP_1) | instid1(TRANS32_DEP_1)
	v_log_f32_e32 v9, v9
	v_nop
	v_mul_f32_e32 v16, 0x3f317217, v9
	v_cmp_gt_f32_e64 s8, 0x7f800000, |v9|
	s_delay_alu instid0(VALU_DEP_2) | instskip(NEXT) | instid1(VALU_DEP_1)
	v_fma_f32 v16, 0x3f317217, v9, -v16
	v_fmac_f32_e32 v16, 0x3377d1cf, v9
	s_delay_alu instid0(VALU_DEP_1) | instskip(NEXT) | instid1(VALU_DEP_1)
	v_fmac_f32_e32 v16, 0x3f317217, v9
	v_cndmask_b32_e64 v16, v9, v16, s8
	v_cvt_f32_u32_e32 v9, v31
	s_delay_alu instid0(VALU_DEP_1) | instskip(NEXT) | instid1(VALU_DEP_1)
	v_cmp_gt_f32_e64 s8, 0x800000, v9
	v_cndmask_b32_e64 v17, 0, 32, s8
	s_delay_alu instid0(VALU_DEP_1) | instskip(NEXT) | instid1(VALU_DEP_1)
	v_ldexp_f32 v17, v9, v17
	v_log_f32_e32 v17, v17
	v_nop
	s_delay_alu instid0(TRANS32_DEP_1) | instskip(SKIP_1) | instid1(VALU_DEP_2)
	v_mul_f32_e32 v18, 0x3f317217, v17
	v_cmp_gt_f32_e64 s9, 0x7f800000, |v17|
	v_fma_f32 v18, 0x3f317217, v17, -v18
	s_delay_alu instid0(VALU_DEP_1) | instskip(NEXT) | instid1(VALU_DEP_1)
	v_fmac_f32_e32 v18, 0x3377d1cf, v17
	v_fmac_f32_e32 v18, 0x3f317217, v17
	s_delay_alu instid0(VALU_DEP_1) | instskip(SKIP_1) | instid1(VALU_DEP_1)
	v_cndmask_b32_e64 v17, v17, v18, s9
	v_cndmask_b32_e64 v18, 0, 0x41b17218, s7
	v_sub_f32_e32 v16, v16, v18
	v_cndmask_b32_e64 v18, 0, 0x41b17218, s8
	s_delay_alu instid0(VALU_DEP_1) | instskip(SKIP_2) | instid1(VALU_DEP_1)
	v_sub_f32_e32 v17, v17, v18
	v_pk_add_f32 v[18:19], v[8:9], 0.5 op_sel_hi:[1,0]
	v_pk_add_f32 v[8:9], v[8:9], -1.0 op_sel_hi:[1,0]
	v_pk_fma_f32 v[8:9], v[18:19], v[16:17], v[8:9] neg_lo:[0,0,1] neg_hi:[0,0,1]
	v_cvt_f32_u32_e32 v16, v26
	s_delay_alu instid0(VALU_DEP_1) | instskip(NEXT) | instid1(VALU_DEP_1)
	v_cmp_gt_f32_e64 s7, 0x800000, v16
	v_cndmask_b32_e64 v17, 0, 32, s7
	s_delay_alu instid0(VALU_DEP_1) | instskip(NEXT) | instid1(VALU_DEP_1)
	v_ldexp_f32 v17, v16, v17
	v_log_f32_e32 v17, v17
	v_nop
	s_delay_alu instid0(TRANS32_DEP_1) | instskip(SKIP_1) | instid1(VALU_DEP_2)
	v_mul_f32_e32 v18, 0x3f317217, v17
	v_cmp_gt_f32_e64 s8, 0x7f800000, |v17|
	v_fma_f32 v18, 0x3f317217, v17, -v18
	s_delay_alu instid0(VALU_DEP_1) | instskip(NEXT) | instid1(VALU_DEP_1)
	v_fmac_f32_e32 v18, 0x3377d1cf, v17
	v_fmac_f32_e32 v18, 0x3f317217, v17
	s_delay_alu instid0(VALU_DEP_1) | instskip(SKIP_1) | instid1(VALU_DEP_1)
	v_cndmask_b32_e64 v18, v17, v18, s8
	v_cvt_f32_u32_e32 v17, v32
	v_cmp_gt_f32_e64 s8, 0x800000, v17
	s_delay_alu instid0(VALU_DEP_1) | instskip(NEXT) | instid1(VALU_DEP_1)
	v_cndmask_b32_e64 v19, 0, 32, s8
	v_ldexp_f32 v19, v17, v19
	s_delay_alu instid0(VALU_DEP_1) | instskip(SKIP_1) | instid1(TRANS32_DEP_1)
	v_log_f32_e32 v19, v19
	v_nop
	v_mul_f32_e32 v38, 0x3f317217, v19
	v_cmp_gt_f32_e64 s9, 0x7f800000, |v19|
	s_delay_alu instid0(VALU_DEP_2) | instskip(NEXT) | instid1(VALU_DEP_1)
	v_fma_f32 v38, 0x3f317217, v19, -v38
	v_fmac_f32_e32 v38, 0x3377d1cf, v19
	s_delay_alu instid0(VALU_DEP_1) | instskip(NEXT) | instid1(VALU_DEP_1)
	v_fmac_f32_e32 v38, 0x3f317217, v19
	v_cndmask_b32_e64 v19, v19, v38, s9
	v_cndmask_b32_e64 v38, 0, 0x41b17218, s7
	s_delay_alu instid0(VALU_DEP_1) | instskip(SKIP_1) | instid1(VALU_DEP_1)
	v_sub_f32_e32 v18, v18, v38
	v_cndmask_b32_e64 v38, 0, 0x41b17218, s8
	v_sub_f32_e32 v19, v19, v38
	v_pk_add_f32 v[38:39], v[16:17], 0.5 op_sel_hi:[1,0]
	v_pk_add_f32 v[16:17], v[16:17], -1.0 op_sel_hi:[1,0]
	s_delay_alu instid0(VALU_DEP_1) | instskip(SKIP_1) | instid1(VALU_DEP_1)
	v_pk_fma_f32 v[18:19], v[38:39], v[18:19], v[16:17] neg_lo:[0,0,1] neg_hi:[0,0,1]
	v_cvt_f32_u32_e32 v16, v29
	v_cmp_gt_f32_e64 s7, 0x800000, v16
	s_delay_alu instid0(VALU_DEP_1) | instskip(NEXT) | instid1(VALU_DEP_1)
	v_cndmask_b32_e64 v17, 0, 32, s7
	v_ldexp_f32 v17, v16, v17
	s_delay_alu instid0(VALU_DEP_1) | instskip(SKIP_1) | instid1(TRANS32_DEP_1)
	v_log_f32_e32 v17, v17
	v_nop
	v_mul_f32_e32 v38, 0x3f317217, v17
	v_cmp_gt_f32_e64 s8, 0x7f800000, |v17|
	s_delay_alu instid0(VALU_DEP_2) | instskip(NEXT) | instid1(VALU_DEP_1)
	v_fma_f32 v38, 0x3f317217, v17, -v38
	v_fmac_f32_e32 v38, 0x3377d1cf, v17
	s_delay_alu instid0(VALU_DEP_1) | instskip(NEXT) | instid1(VALU_DEP_1)
	v_fmac_f32_e32 v38, 0x3f317217, v17
	v_cndmask_b32_e64 v38, v17, v38, s8
	v_cvt_f32_u32_e32 v17, v28
	s_delay_alu instid0(VALU_DEP_1) | instskip(NEXT) | instid1(VALU_DEP_1)
	v_cmp_gt_f32_e64 s8, 0x800000, v17
	v_cndmask_b32_e64 v39, 0, 32, s8
	s_delay_alu instid0(VALU_DEP_1) | instskip(NEXT) | instid1(VALU_DEP_1)
	v_ldexp_f32 v39, v17, v39
	v_log_f32_e32 v39, v39
	v_nop
	s_delay_alu instid0(TRANS32_DEP_1) | instskip(SKIP_1) | instid1(VALU_DEP_2)
	v_mul_f32_e32 v40, 0x3f317217, v39
	v_cmp_gt_f32_e64 s9, 0x7f800000, |v39|
	v_fma_f32 v40, 0x3f317217, v39, -v40
	s_delay_alu instid0(VALU_DEP_1) | instskip(NEXT) | instid1(VALU_DEP_1)
	v_fmac_f32_e32 v40, 0x3377d1cf, v39
	v_fmac_f32_e32 v40, 0x3f317217, v39
	s_delay_alu instid0(VALU_DEP_1) | instskip(SKIP_1) | instid1(VALU_DEP_1)
	v_cndmask_b32_e64 v39, v39, v40, s9
	v_cndmask_b32_e64 v40, 0, 0x41b17218, s7
	v_sub_f32_e32 v38, v38, v40
	v_cndmask_b32_e64 v40, 0, 0x41b17218, s8
	s_delay_alu instid0(VALU_DEP_1) | instskip(SKIP_2) | instid1(VALU_DEP_1)
	v_sub_f32_e32 v39, v39, v40
	v_pk_add_f32 v[40:41], v[16:17], 0.5 op_sel_hi:[1,0]
	v_pk_add_f32 v[16:17], v[16:17], -1.0 op_sel_hi:[1,0]
	v_pk_fma_f32 v[38:39], v[40:41], v[38:39], v[16:17] neg_lo:[0,0,1] neg_hi:[0,0,1]
	v_cvt_f32_u32_e32 v16, v33
	s_delay_alu instid0(VALU_DEP_1) | instskip(NEXT) | instid1(VALU_DEP_1)
	v_cmp_gt_f32_e64 s7, 0x800000, v16
	v_cndmask_b32_e64 v17, 0, 32, s7
	s_delay_alu instid0(VALU_DEP_1) | instskip(NEXT) | instid1(VALU_DEP_1)
	v_ldexp_f32 v17, v16, v17
	v_log_f32_e32 v17, v17
	v_nop
	s_delay_alu instid0(TRANS32_DEP_1) | instskip(SKIP_1) | instid1(VALU_DEP_2)
	v_mul_f32_e32 v40, 0x3f317217, v17
	v_cmp_gt_f32_e64 s8, 0x7f800000, |v17|
	v_fma_f32 v40, 0x3f317217, v17, -v40
	s_delay_alu instid0(VALU_DEP_1) | instskip(NEXT) | instid1(VALU_DEP_1)
	v_fmac_f32_e32 v40, 0x3377d1cf, v17
	v_fmac_f32_e32 v40, 0x3f317217, v17
	s_delay_alu instid0(VALU_DEP_1) | instskip(SKIP_1) | instid1(VALU_DEP_1)
	v_cndmask_b32_e64 v40, v17, v40, s8
	v_cvt_f32_u32_e32 v17, v10
	v_cmp_gt_f32_e64 s8, 0x800000, v17
	s_delay_alu instid0(VALU_DEP_1) | instskip(NEXT) | instid1(VALU_DEP_1)
	v_cndmask_b32_e64 v41, 0, 32, s8
	v_ldexp_f32 v41, v17, v41
	s_delay_alu instid0(VALU_DEP_1) | instskip(SKIP_1) | instid1(TRANS32_DEP_1)
	v_log_f32_e32 v41, v41
	v_nop
	v_mul_f32_e32 v42, 0x3f317217, v41
	v_cmp_gt_f32_e64 s9, 0x7f800000, |v41|
	s_delay_alu instid0(VALU_DEP_2) | instskip(NEXT) | instid1(VALU_DEP_1)
	v_fma_f32 v42, 0x3f317217, v41, -v42
	v_fmac_f32_e32 v42, 0x3377d1cf, v41
	s_delay_alu instid0(VALU_DEP_1) | instskip(NEXT) | instid1(VALU_DEP_1)
	v_fmac_f32_e32 v42, 0x3f317217, v41
	v_cndmask_b32_e64 v41, v41, v42, s9
	v_cndmask_b32_e64 v42, 0, 0x41b17218, s7
	s_delay_alu instid0(VALU_DEP_1) | instskip(SKIP_1) | instid1(VALU_DEP_1)
	v_sub_f32_e32 v40, v40, v42
	v_cndmask_b32_e64 v42, 0, 0x41b17218, s8
	v_sub_f32_e32 v41, v41, v42
	v_pk_add_f32 v[42:43], v[16:17], 0.5 op_sel_hi:[1,0]
	v_pk_add_f32 v[16:17], v[16:17], -1.0 op_sel_hi:[1,0]
	s_delay_alu instid0(VALU_DEP_1) | instskip(SKIP_1) | instid1(VALU_DEP_1)
	v_pk_fma_f32 v[16:17], v[42:43], v[40:41], v[16:17] neg_lo:[0,0,1] neg_hi:[0,0,1]
	v_cvt_f32_u32_e32 v40, v25
	v_cmp_gt_f32_e64 s7, 0x800000, v40
	s_delay_alu instid0(VALU_DEP_1) | instskip(NEXT) | instid1(VALU_DEP_1)
	v_cndmask_b32_e64 v41, 0, 32, s7
	v_ldexp_f32 v41, v40, v41
	s_delay_alu instid0(VALU_DEP_1) | instskip(SKIP_1) | instid1(TRANS32_DEP_1)
	v_log_f32_e32 v41, v41
	v_nop
	v_mul_f32_e32 v42, 0x3f317217, v41
	v_cmp_gt_f32_e64 s8, 0x7f800000, |v41|
	s_delay_alu instid0(VALU_DEP_2) | instskip(NEXT) | instid1(VALU_DEP_1)
	v_fma_f32 v42, 0x3f317217, v41, -v42
	v_fmac_f32_e32 v42, 0x3377d1cf, v41
	s_delay_alu instid0(VALU_DEP_1) | instskip(NEXT) | instid1(VALU_DEP_1)
	v_fmac_f32_e32 v42, 0x3f317217, v41
	v_cndmask_b32_e64 v42, v41, v42, s8
	v_cvt_f32_u32_e32 v41, v27
	s_delay_alu instid0(VALU_DEP_1) | instskip(NEXT) | instid1(VALU_DEP_1)
	v_cmp_gt_f32_e64 s8, 0x800000, v41
	v_cndmask_b32_e64 v43, 0, 32, s8
	s_delay_alu instid0(VALU_DEP_1) | instskip(NEXT) | instid1(VALU_DEP_1)
	v_ldexp_f32 v43, v41, v43
	v_log_f32_e32 v43, v43
	v_nop
	s_delay_alu instid0(TRANS32_DEP_1) | instskip(SKIP_1) | instid1(VALU_DEP_2)
	v_mul_f32_e32 v44, 0x3f317217, v43
	v_cmp_gt_f32_e64 s9, 0x7f800000, |v43|
	v_fma_f32 v44, 0x3f317217, v43, -v44
	s_delay_alu instid0(VALU_DEP_1) | instskip(NEXT) | instid1(VALU_DEP_1)
	v_fmac_f32_e32 v44, 0x3377d1cf, v43
	v_fmac_f32_e32 v44, 0x3f317217, v43
	s_delay_alu instid0(VALU_DEP_1) | instskip(SKIP_1) | instid1(VALU_DEP_1)
	v_cndmask_b32_e64 v43, v43, v44, s9
	v_cndmask_b32_e64 v44, 0, 0x41b17218, s7
	v_sub_f32_e32 v42, v42, v44
	v_cndmask_b32_e64 v44, 0, 0x41b17218, s8
	s_delay_alu instid0(VALU_DEP_1) | instskip(SKIP_2) | instid1(VALU_DEP_1)
	v_sub_f32_e32 v43, v43, v44
	v_pk_add_f32 v[44:45], v[40:41], 0.5 op_sel_hi:[1,0]
	v_pk_add_f32 v[40:41], v[40:41], -1.0 op_sel_hi:[1,0]
	v_pk_fma_f32 v[40:41], v[44:45], v[42:43], v[40:41] neg_lo:[0,0,1] neg_hi:[0,0,1]
	v_cvt_f32_u32_e32 v42, v34
	s_delay_alu instid0(VALU_DEP_1) | instskip(NEXT) | instid1(VALU_DEP_1)
	v_cmp_gt_f32_e64 s7, 0x800000, v42
	v_cndmask_b32_e64 v43, 0, 32, s7
	s_delay_alu instid0(VALU_DEP_1) | instskip(NEXT) | instid1(VALU_DEP_1)
	v_ldexp_f32 v43, v42, v43
	v_log_f32_e32 v43, v43
	v_nop
	s_delay_alu instid0(TRANS32_DEP_1) | instskip(SKIP_1) | instid1(VALU_DEP_2)
	v_mul_f32_e32 v44, 0x3f317217, v43
	v_cmp_gt_f32_e64 s8, 0x7f800000, |v43|
	v_fma_f32 v44, 0x3f317217, v43, -v44
	s_delay_alu instid0(VALU_DEP_1) | instskip(NEXT) | instid1(VALU_DEP_1)
	v_fmac_f32_e32 v44, 0x3377d1cf, v43
	v_fmac_f32_e32 v44, 0x3f317217, v43
	s_delay_alu instid0(VALU_DEP_1) | instskip(SKIP_1) | instid1(VALU_DEP_1)
	v_cndmask_b32_e64 v44, v43, v44, s8
	v_cvt_f32_u32_e32 v43, v6
	v_cmp_gt_f32_e64 s8, 0x800000, v43
	s_delay_alu instid0(VALU_DEP_1) | instskip(NEXT) | instid1(VALU_DEP_1)
	v_cndmask_b32_e64 v45, 0, 32, s8
	v_ldexp_f32 v45, v43, v45
	s_delay_alu instid0(VALU_DEP_1) | instskip(SKIP_1) | instid1(TRANS32_DEP_1)
	v_log_f32_e32 v45, v45
	v_nop
	v_mul_f32_e32 v46, 0x3f317217, v45
	v_cmp_gt_f32_e64 s9, 0x7f800000, |v45|
	s_delay_alu instid0(VALU_DEP_2) | instskip(NEXT) | instid1(VALU_DEP_1)
	v_fma_f32 v46, 0x3f317217, v45, -v46
	v_fmac_f32_e32 v46, 0x3377d1cf, v45
	s_delay_alu instid0(VALU_DEP_1) | instskip(NEXT) | instid1(VALU_DEP_1)
	v_fmac_f32_e32 v46, 0x3f317217, v45
	v_cndmask_b32_e64 v45, v45, v46, s9
	v_cndmask_b32_e64 v46, 0, 0x41b17218, s7
	s_delay_alu instid0(VALU_DEP_1) | instskip(SKIP_1) | instid1(VALU_DEP_1)
	v_sub_f32_e32 v44, v44, v46
	v_cndmask_b32_e64 v46, 0, 0x41b17218, s8
	v_sub_f32_e32 v45, v45, v46
	v_pk_add_f32 v[46:47], v[42:43], 0.5 op_sel_hi:[1,0]
	v_pk_add_f32 v[42:43], v[42:43], -1.0 op_sel_hi:[1,0]
	s_delay_alu instid0(VALU_DEP_1) | instskip(SKIP_2) | instid1(VALU_DEP_2)
	v_pk_fma_f32 v[42:43], v[46:47], v[44:45], v[42:43] neg_lo:[0,0,1] neg_hi:[0,0,1]
	v_cvt_f32_u32_e32 v44, v23
	v_mov_b64_e32 v[46:47], 0xbf8000003f000000
	v_cmp_gt_f32_e64 s0, 0x800000, v44
	s_delay_alu instid0(VALU_DEP_1) | instskip(NEXT) | instid1(VALU_DEP_1)
	v_cndmask_b32_e64 v35, 0, 32, s0
	v_ldexp_f32 v35, v44, v35
	s_delay_alu instid0(VALU_DEP_4) | instskip(NEXT) | instid1(VALU_DEP_2)
	v_pk_add_f32 v[44:45], v[44:45], v[46:47] op_sel_hi:[0,1]
	v_log_f32_e32 v35, v35
	v_nop
	s_delay_alu instid0(TRANS32_DEP_1) | instskip(NEXT) | instid1(VALU_DEP_1)
	v_mul_f32_e32 v46, 0x3f317217, v35
	v_fma_f32 v46, 0x3f317217, v35, -v46
	s_delay_alu instid0(VALU_DEP_1) | instskip(NEXT) | instid1(VALU_DEP_1)
	v_fmac_f32_e32 v46, 0x3377d1cf, v35
	v_fmac_f32_e32 v46, 0x3f317217, v35
	v_cndmask_b32_e64 v0, 0, v0, s1
	v_cmp_gt_f32_e64 s1, 0x7f800000, |v35|
	s_delay_alu instid0(VALU_DEP_1) | instskip(SKIP_3) | instid1(VALU_DEP_1)
	v_cndmask_b32_e64 v35, v35, v46, s1
	v_cndmask_b32_e64 v46, 0, 0x41b17218, s0
	v_cmp_ne_u32_e64 s0, 0, v30
	v_cmp_ne_u32_e64 s1, 0, v31
	v_dual_sub_f32 v35, v35, v46 :: v_dual_cndmask_b32 v9, 0, v9, s1
	v_cmp_ne_u32_e64 s1, 0, v32
	s_delay_alu instid0(VALU_DEP_2) | instskip(SKIP_1) | instid1(VALU_DEP_3)
	v_dual_cndmask_b32 v8, 0, v8, s0 :: v_dual_fma_f32 v35, v44, v35, -v45
	v_cmp_ne_u32_e64 s0, 0, v26
	v_cndmask_b32_e64 v19, 0, v19, s1
	v_cmp_ne_u32_e64 s1, 0, v28
	s_delay_alu instid0(VALU_DEP_3) | instskip(SKIP_1) | instid1(VALU_DEP_3)
	v_cndmask_b32_e64 v18, 0, v18, s0
	v_cmp_ne_u32_e64 s0, 0, v29
	v_cndmask_b32_e64 v29, 0, v39, s1
	v_cmp_ne_u32_e64 s1, 0, v27
	s_delay_alu instid0(VALU_DEP_3) | instskip(SKIP_1) | instid1(VALU_DEP_3)
	v_cndmask_b32_e64 v28, 0, v38, s0
	v_cmp_ne_u32_e64 s0, 0, v25
	v_cndmask_b32_e64 v27, 0, v41, s1
	v_cmp_ne_u32_e64 s1, 0, v6
	s_delay_alu instid0(VALU_DEP_4) | instskip(NEXT) | instid1(VALU_DEP_4)
	v_pk_add_f32 v[0:1], v[28:29], v[0:1] neg_lo:[0,1] neg_hi:[0,1]
	v_cndmask_b32_e64 v26, 0, v40, s0
	v_cmp_ne_u32_e64 s0, 0, v34
	v_cndmask_b32_e32 v6, 0, v13, vcc_lo
	v_cmp_ne_u32_e32 vcc_lo, 0, v23
	v_add3_u32 v23, v7, v22, 1
	s_delay_alu instid0(VALU_DEP_4)
	v_dual_cndmask_b32 v29, 0, v43, s1 :: v_dual_cndmask_b32 v28, 0, v42, s0
	v_cmp_ne_u32_e64 s0, 0, v24
	v_cndmask_b32_e32 v11, 0, v35, vcc_lo
	v_pk_add_f32 v[0:1], v[0:1], v[8:9] neg_lo:[0,1] neg_hi:[0,1]
	v_cndmask_b32_e64 v2, 0, v2, s4
	v_cmp_ne_u32_e64 s4, 0, v10
	v_cndmask_b32_e64 v12, 0, v12, s0
	s_delay_alu instid0(VALU_DEP_1) | instskip(SKIP_3) | instid1(VALU_DEP_4)
	v_sub_f32_e32 v6, v12, v6
	v_pk_add_f32 v[12:13], v[26:27], v[14:15] neg_lo:[0,1] neg_hi:[0,1]
	v_cvt_f32_u32_e32 v14, v23
	v_cvt_f32_u32_e32 v15, v37
	v_sub_f32_e32 v6, v6, v11
	s_delay_alu instid0(VALU_DEP_4) | instskip(NEXT) | instid1(VALU_DEP_4)
	v_pk_add_f32 v[12:13], v[12:13], v[18:19] neg_lo:[0,1] neg_hi:[0,1]
	v_cmp_gt_f32_e32 vcc_lo, 0x800000, v14
	s_delay_alu instid0(VALU_DEP_4)
	v_cmp_gt_f32_e64 s0, 0x800000, v15
	v_cvt_f32_u32_e32 v18, v22
	v_add_f32_e32 v6, 0, v6
	v_cvt_f32_u32_e32 v19, v36
	v_cndmask_b32_e64 v11, 0, 32, vcc_lo
	v_cndmask_b32_e64 v8, 0, 32, s0
	v_cmp_gt_f32_e64 s1, 0x800000, v18
	v_add_f32_e32 v6, v6, v12
	v_cmp_gt_f32_e64 s2, 0x800000, v19
	v_ldexp_f32 v11, v14, v11
	v_ldexp_f32 v8, v15, v8
	v_cndmask_b32_e64 v9, 0, 32, s1
	s_delay_alu instid0(VALU_DEP_3) | instskip(NEXT) | instid1(VALU_DEP_2)
	v_log_f32_e32 v11, v11
	v_log_f32_e32 v12, v8
	s_delay_alu instid0(VALU_DEP_1) | instskip(NEXT) | instid1(TRANS32_DEP_2)
	v_ldexp_f32 v9, v18, v9
	v_mul_f32_e32 v8, 0x3f317217, v11
	s_delay_alu instid0(VALU_DEP_1) | instskip(NEXT) | instid1(VALU_DEP_1)
	v_fma_f32 v8, 0x3f317217, v11, -v8
	v_fmac_f32_e32 v8, 0x3377d1cf, v11
	s_delay_alu instid0(VALU_DEP_1) | instskip(SKIP_2) | instid1(VALU_DEP_2)
	v_fmac_f32_e32 v8, 0x3f317217, v11
	v_add_f32_e32 v6, v6, v13
	v_cndmask_b32_e64 v13, 0, 32, s2
	v_add_f32_e32 v0, v6, v0
	v_log_f32_e32 v6, v9
	v_nop
	v_mul_f32_e32 v9, 0x3f317217, v12
	v_ldexp_f32 v13, v19, v13
	v_pk_add_f32 v[2:3], v[28:29], v[2:3] neg_lo:[0,1] neg_hi:[0,1]
	s_delay_alu instid0(VALU_DEP_3) | instskip(NEXT) | instid1(TRANS32_DEP_1)
	v_fma_f32 v25, 0x3f317217, v12, -v9
	v_mul_f32_e32 v24, 0x3f317217, v6
	v_cndmask_b32_e64 v9, 0, v17, s4
	v_cmp_gt_f32_e64 s4, 0x7f800000, |v11|
	s_delay_alu instid0(VALU_DEP_4) | instskip(NEXT) | instid1(VALU_DEP_4)
	v_fmac_f32_e32 v25, 0x3377d1cf, v12
	v_fma_f32 v17, 0x3f317217, v6, -v24
	v_log_f32_e32 v24, v13
	s_delay_alu instid0(VALU_DEP_3) | instskip(SKIP_4) | instid1(VALU_DEP_4)
	v_cndmask_b32_e64 v10, v11, v8, s4
	v_cndmask_b32_e64 v11, 0, 0x41b17218, vcc_lo
	v_fmac_f32_e32 v25, 0x3f317217, v12
	v_cmp_gt_f32_e64 vcc_lo, 0x7f800000, |v12|
	v_fmac_f32_e32 v17, 0x3377d1cf, v6
	v_dual_cndmask_b32 v8, 0, v16, s3 :: v_dual_sub_f32 v10, v10, v11
	v_mul_f32_e32 v13, 0x3f317217, v24
	v_cndmask_b32_e32 v11, v12, v25, vcc_lo
	v_cndmask_b32_e64 v12, 0, 0x41b17218, s0
	v_fmac_f32_e32 v17, 0x3f317217, v6
	v_cmp_gt_f32_e64 vcc_lo, 0x7f800000, |v6|
	v_fma_f32 v16, 0x3f317217, v24, -v13
	s_delay_alu instid0(VALU_DEP_4) | instskip(SKIP_2) | instid1(VALU_DEP_4)
	v_dual_add_f32 v25, v0, v1 :: v_dual_sub_f32 v11, v11, v12
	v_pk_add_f32 v[12:13], v[14:15], 0.5 op_sel_hi:[1,0]
	v_pk_add_f32 v[14:15], v[14:15], -1.0 op_sel_hi:[1,0]
	v_fmac_f32_e32 v16, 0x3377d1cf, v24
	v_pk_add_f32 v[0:1], v[2:3], v[8:9] neg_lo:[0,1] neg_hi:[0,1]
	s_delay_alu instid0(VALU_DEP_3) | instskip(SKIP_1) | instid1(VALU_DEP_4)
	v_pk_fma_f32 v[8:9], v[12:13], v[10:11], v[14:15] neg_lo:[0,0,1] neg_hi:[0,0,1]
	v_cndmask_b32_e32 v6, v6, v17, vcc_lo
	v_fmac_f32_e32 v16, 0x3f317217, v24
	v_cmp_gt_f32_e64 vcc_lo, 0x7f800000, |v24|
	v_cndmask_b32_e64 v17, 0, 0x41b17218, s1
	v_pk_add_f32 v[10:11], v[18:19], 0.5 op_sel_hi:[1,0]
	v_pk_add_f32 v[12:13], v[18:19], -1.0 op_sel_hi:[1,0]
	v_cndmask_b32_e32 v3, v24, v16, vcc_lo
	v_cmp_ne_u32_e32 vcc_lo, 0, v37
	v_cndmask_b32_e32 v9, 0, v9, vcc_lo
	v_cmp_ne_u32_e32 vcc_lo, 0, v23
	;; [unrolled: 2-line block ×3, first 2 shown]
	v_sub_f32_e32 v2, v6, v17
	v_cndmask_b32_e64 v6, 0, 0x41b17218, s2
	v_cndmask_b32_e32 v4, 0, v4, vcc_lo
	v_cmp_ne_u32_e32 vcc_lo, 0, v36
	s_delay_alu instid0(VALU_DEP_3) | instskip(NEXT) | instid1(VALU_DEP_3)
	v_sub_f32_e32 v3, v3, v6
	v_pk_add_f32 v[4:5], v[8:9], v[4:5] neg_lo:[0,1] neg_hi:[0,1]
	s_delay_alu instid0(VALU_DEP_2) | instskip(NEXT) | instid1(VALU_DEP_1)
	v_pk_fma_f32 v[2:3], v[10:11], v[2:3], v[12:13] neg_lo:[0,0,1] neg_hi:[0,0,1]
	v_cndmask_b32_e32 v3, 0, v3, vcc_lo
	v_cmp_ne_u32_e32 vcc_lo, 0, v22
	s_delay_alu instid0(VALU_DEP_3) | instskip(NEXT) | instid1(VALU_DEP_1)
	v_dual_add_f32 v0, v25, v0 :: v_dual_cndmask_b32 v2, 0, v2, vcc_lo
	v_add_f32_e32 v6, v0, v1
	s_delay_alu instid0(VALU_DEP_2) | instskip(SKIP_1) | instid1(VALU_DEP_2)
	v_pk_add_f32 v[0:1], v[4:5], v[2:3] neg_lo:[0,1] neg_hi:[0,1]
	v_mad_u32 v2, v20, s12, v21
	v_add_f32_e32 v0, v6, v0
	s_delay_alu instid0(VALU_DEP_1) | instskip(NEXT) | instid1(VALU_DEP_1)
	v_add_f32_e32 v0, v0, v1
	v_cmp_neq_f32_e32 vcc_lo, 0, v0
	v_cndmask_b32_e64 v0, 0x7f7fffff, |v0|, vcc_lo
	global_store_b32 v2, v0, s[10:11] scale_offset
.LBB0_11:
	s_endpgm
	.section	.rodata,"a",@progbits
	.p2align	6, 0x0
	.amdhsa_kernel _Z3epiPKjS0_Pfiiiii
		.amdhsa_group_segment_fixed_size 0
		.amdhsa_private_segment_fixed_size 0
		.amdhsa_kernarg_size 304
		.amdhsa_user_sgpr_count 2
		.amdhsa_user_sgpr_dispatch_ptr 0
		.amdhsa_user_sgpr_queue_ptr 0
		.amdhsa_user_sgpr_kernarg_segment_ptr 1
		.amdhsa_user_sgpr_dispatch_id 0
		.amdhsa_user_sgpr_kernarg_preload_length 0
		.amdhsa_user_sgpr_kernarg_preload_offset 0
		.amdhsa_user_sgpr_private_segment_size 0
		.amdhsa_wavefront_size32 1
		.amdhsa_uses_dynamic_stack 0
		.amdhsa_enable_private_segment 0
		.amdhsa_system_sgpr_workgroup_id_x 1
		.amdhsa_system_sgpr_workgroup_id_y 1
		.amdhsa_system_sgpr_workgroup_id_z 0
		.amdhsa_system_sgpr_workgroup_info 0
		.amdhsa_system_vgpr_workitem_id 1
		.amdhsa_next_free_vgpr 48
		.amdhsa_next_free_sgpr 19
		.amdhsa_named_barrier_count 0
		.amdhsa_reserve_vcc 1
		.amdhsa_float_round_mode_32 0
		.amdhsa_float_round_mode_16_64 0
		.amdhsa_float_denorm_mode_32 3
		.amdhsa_float_denorm_mode_16_64 3
		.amdhsa_fp16_overflow 0
		.amdhsa_memory_ordered 1
		.amdhsa_forward_progress 1
		.amdhsa_inst_pref_size 46
		.amdhsa_round_robin_scheduling 0
		.amdhsa_exception_fp_ieee_invalid_op 0
		.amdhsa_exception_fp_denorm_src 0
		.amdhsa_exception_fp_ieee_div_zero 0
		.amdhsa_exception_fp_ieee_overflow 0
		.amdhsa_exception_fp_ieee_underflow 0
		.amdhsa_exception_fp_ieee_inexact 0
		.amdhsa_exception_int_div_zero 0
	.end_amdhsa_kernel
	.text
.Lfunc_end0:
	.size	_Z3epiPKjS0_Pfiiiii, .Lfunc_end0-_Z3epiPKjS0_Pfiiiii
                                        ; -- End function
	.set _Z3epiPKjS0_Pfiiiii.num_vgpr, 48
	.set _Z3epiPKjS0_Pfiiiii.num_agpr, 0
	.set _Z3epiPKjS0_Pfiiiii.numbered_sgpr, 19
	.set _Z3epiPKjS0_Pfiiiii.num_named_barrier, 0
	.set _Z3epiPKjS0_Pfiiiii.private_seg_size, 0
	.set _Z3epiPKjS0_Pfiiiii.uses_vcc, 1
	.set _Z3epiPKjS0_Pfiiiii.uses_flat_scratch, 0
	.set _Z3epiPKjS0_Pfiiiii.has_dyn_sized_stack, 0
	.set _Z3epiPKjS0_Pfiiiii.has_recursion, 0
	.set _Z3epiPKjS0_Pfiiiii.has_indirect_call, 0
	.section	.AMDGPU.csdata,"",@progbits
; Kernel info:
; codeLenInByte = 5836
; TotalNumSgprs: 21
; NumVgprs: 48
; ScratchSize: 0
; MemoryBound: 0
; FloatMode: 240
; IeeeMode: 1
; LDSByteSize: 0 bytes/workgroup (compile time only)
; SGPRBlocks: 0
; VGPRBlocks: 2
; NumSGPRsForWavesPerEU: 21
; NumVGPRsForWavesPerEU: 48
; NamedBarCnt: 0
; Occupancy: 16
; WaveLimiterHint : 0
; COMPUTE_PGM_RSRC2:SCRATCH_EN: 0
; COMPUTE_PGM_RSRC2:USER_SGPR: 2
; COMPUTE_PGM_RSRC2:TRAP_HANDLER: 0
; COMPUTE_PGM_RSRC2:TGID_X_EN: 1
; COMPUTE_PGM_RSRC2:TGID_Y_EN: 1
; COMPUTE_PGM_RSRC2:TGID_Z_EN: 0
; COMPUTE_PGM_RSRC2:TIDIG_COMP_CNT: 1
	.text
	.p2alignl 7, 3214868480
	.fill 96, 4, 3214868480
	.section	.AMDGPU.gpr_maximums,"",@progbits
	.set amdgpu.max_num_vgpr, 0
	.set amdgpu.max_num_agpr, 0
	.set amdgpu.max_num_sgpr, 0
	.text
	.type	__hip_cuid_8147af243cc75454,@object ; @__hip_cuid_8147af243cc75454
	.section	.bss,"aw",@nobits
	.globl	__hip_cuid_8147af243cc75454
__hip_cuid_8147af243cc75454:
	.byte	0                               ; 0x0
	.size	__hip_cuid_8147af243cc75454, 1

	.ident	"AMD clang version 22.0.0git (https://github.com/RadeonOpenCompute/llvm-project roc-7.2.4 26084 f58b06dce1f9c15707c5f808fd002e18c2accf7e)"
	.section	".note.GNU-stack","",@progbits
	.addrsig
	.addrsig_sym __hip_cuid_8147af243cc75454
	.amdgpu_metadata
---
amdhsa.kernels:
  - .args:
      - .address_space:  global
        .offset:         0
        .size:           8
        .value_kind:     global_buffer
      - .address_space:  global
        .offset:         8
        .size:           8
        .value_kind:     global_buffer
      - .address_space:  global
        .offset:         16
        .size:           8
        .value_kind:     global_buffer
      - .offset:         24
        .size:           4
        .value_kind:     by_value
      - .offset:         28
        .size:           4
        .value_kind:     by_value
      - .offset:         32
        .size:           4
        .value_kind:     by_value
      - .offset:         36
        .size:           4
        .value_kind:     by_value
      - .offset:         40
        .size:           4
        .value_kind:     by_value
      - .offset:         48
        .size:           4
        .value_kind:     hidden_block_count_x
      - .offset:         52
        .size:           4
        .value_kind:     hidden_block_count_y
      - .offset:         56
        .size:           4
        .value_kind:     hidden_block_count_z
      - .offset:         60
        .size:           2
        .value_kind:     hidden_group_size_x
      - .offset:         62
        .size:           2
        .value_kind:     hidden_group_size_y
      - .offset:         64
        .size:           2
        .value_kind:     hidden_group_size_z
      - .offset:         66
        .size:           2
        .value_kind:     hidden_remainder_x
      - .offset:         68
        .size:           2
        .value_kind:     hidden_remainder_y
      - .offset:         70
        .size:           2
        .value_kind:     hidden_remainder_z
      - .offset:         88
        .size:           8
        .value_kind:     hidden_global_offset_x
      - .offset:         96
        .size:           8
        .value_kind:     hidden_global_offset_y
      - .offset:         104
        .size:           8
        .value_kind:     hidden_global_offset_z
      - .offset:         112
        .size:           2
        .value_kind:     hidden_grid_dims
    .group_segment_fixed_size: 0
    .kernarg_segment_align: 8
    .kernarg_segment_size: 304
    .language:       OpenCL C
    .language_version:
      - 2
      - 0
    .max_flat_workgroup_size: 1024
    .name:           _Z3epiPKjS0_Pfiiiii
    .private_segment_fixed_size: 0
    .sgpr_count:     21
    .sgpr_spill_count: 0
    .symbol:         _Z3epiPKjS0_Pfiiiii.kd
    .uniform_work_group_size: 1
    .uses_dynamic_stack: false
    .vgpr_count:     48
    .vgpr_spill_count: 0
    .wavefront_size: 32
amdhsa.target:   amdgcn-amd-amdhsa--gfx1250
amdhsa.version:
  - 1
  - 2
...

	.end_amdgpu_metadata
